;; amdgpu-corpus repo=llvm/llvm-project kind=harvested arch=n/a opt=n/a
// NOTE: Assertions have been autogenerated by utils/update_mc_test_checks.py UTC_ARGS: --version 5
// RUN: llvm-mc -triple=amdgcn -mcpu=gfx1170 -mattr=+wavefrontsize32 -show-encoding %s | FileCheck --check-prefixes=GFX1170 %s
// RUN: llvm-mc -triple=amdgcn -mcpu=gfx1170 -mattr=+wavefrontsize32 -show-encoding %s | %extract-encodings | llvm-mc -triple=amdgcn -mcpu=gfx1170 -mattr=+wavefrontsize32 -disassemble -show-encoding | FileCheck --strict-whitespace --check-prefixes=GFX1170 %s

v_dual_max_num_f32 v255, v4, v255 :: v_dual_mov_b32 v6, v1
// GFX1170: v_dual_max_num_f32 v255, v4, v255 :: v_dual_mov_b32 v6, v1 ; encoding: [0x04,0xff,0x91,0xca,0x01,0x01,0x06,0xff]

v_dual_max_num_f32 v255, v1, v255 :: v_dual_mov_b32 v6, v255
// GFX1170: v_dual_max_num_f32 v255, v1, v255 :: v_dual_mov_b32 v6, v255 ; encoding: [0x01,0xff,0x91,0xca,0xff,0x01,0x06,0xff]
	;; [unrolled: 3-line block ×7, first 2 shown]

v_dual_max_num_f32 v255, ttmp15, v255 :: v_dual_mov_b32 v6, vcc_lo
// GFX1170: v_dual_max_num_f32 v255, ttmp15, v255 :: v_dual_mov_b32 v6, vcc_lo ; encoding: [0x7b,0xfe,0x91,0xca,0x6a,0x00,0x06,0xff]

v_dual_max_num_f32 v255, exec_hi, v255 :: v_dual_mov_b32 v6, vcc_hi
// GFX1170: v_dual_max_num_f32 v255, exec_hi, v255 :: v_dual_mov_b32 v6, vcc_hi ; encoding: [0x7f,0xfe,0x91,0xca,0x6b,0x00,0x06,0xff]

v_dual_max_num_f32 v255, exec_lo, v255 :: v_dual_mov_b32 v6, ttmp15
// GFX1170: v_dual_max_num_f32 v255, exec_lo, v255 :: v_dual_mov_b32 v6, ttmp15 ; encoding: [0x7e,0xfe,0x91,0xca,0x7b,0x00,0x06,0xff]

v_dual_max_num_f32 v255, m0, v255 :: v_dual_mov_b32 v6, m0
// GFX1170: v_dual_max_num_f32 v255, m0, v255 :: v_dual_mov_b32 v6, m0 ; encoding: [0x7d,0xfe,0x91,0xca,0x7d,0x00,0x06,0xff]

v_dual_max_num_f32 v255, vcc_hi, v255 :: v_dual_mov_b32 v6, exec_lo
// GFX1170: v_dual_max_num_f32 v255, vcc_hi, v255 :: v_dual_mov_b32 v6, exec_lo ; encoding: [0x6b,0xfe,0x91,0xca,0x7e,0x00,0x06,0xff]

v_dual_max_num_f32 v255, vcc_lo, v255 :: v_dual_mov_b32 v6, exec_hi
// GFX1170: v_dual_max_num_f32 v255, vcc_lo, v255 :: v_dual_mov_b32 v6, exec_hi ; encoding: [0x6a,0xfe,0x91,0xca,0x7f,0x00,0x06,0xff]

v_dual_max_num_f32 v255, 0xaf123456, v255 :: v_dual_mov_b32 v6, null
// GFX1170: v_dual_max_num_f32 v255, 0xaf123456, v255 :: v_dual_mov_b32 v6, null ; encoding: [0xff,0xfe,0x91,0xca,0x7c,0x00,0x06,0xff,0x56,0x34,0x12,0xaf]

v_dual_max_num_f32 v255, src_scc, v255 :: v_dual_mov_b32 v6, -1
// GFX1170: v_dual_max_num_f32 v255, src_scc, v255 :: v_dual_mov_b32 v6, -1 ; encoding: [0xfd,0xfe,0x91,0xca,0xc1,0x00,0x06,0xff]

v_dual_max_num_f32 v255, 0.5, v3 :: v_dual_mov_b32 v6, 0.5
// GFX1170: v_dual_max_num_f32 v255, 0.5, v3 :: v_dual_mov_b32 v6, 0.5 ; encoding: [0xf0,0x06,0x90,0xca,0xf0,0x00,0x06,0xff]

v_dual_max_num_f32 v255, -1, v4 :: v_dual_mov_b32 v6, src_scc
// GFX1170: v_dual_max_num_f32 v255, -1, v4 :: v_dual_mov_b32 v6, src_scc ; encoding: [0xc1,0x08,0x90,0xca,0xfd,0x00,0x06,0xff]

v_dual_max_num_f32 v6, null, v5 :: v_dual_mov_b32 v255, 0xaf123456
// GFX1170: v_dual_max_num_f32 v6, null, v5 :: v_dual_mov_b32 v255, 0xaf123456 ; encoding: [0x7c,0x0a,0x90,0xca,0xff,0x00,0xfe,0x06,0x56,0x34,0x12,0xaf]

v_dual_min_num_f32 v255, v4, v255 :: v_dual_mov_b32 v6, v1
// GFX1170: v_dual_min_num_f32 v255, v4, v255 :: v_dual_mov_b32 v6, v1 ; encoding: [0x04,0xff,0xd1,0xca,0x01,0x01,0x06,0xff]

v_dual_min_num_f32 v255, v1, v255 :: v_dual_mov_b32 v6, v255
// GFX1170: v_dual_min_num_f32 v255, v1, v255 :: v_dual_mov_b32 v6, v255 ; encoding: [0x01,0xff,0xd1,0xca,0xff,0x01,0x06,0xff]
	;; [unrolled: 3-line block ×7, first 2 shown]

v_dual_min_num_f32 v255, ttmp15, v255 :: v_dual_mov_b32 v6, vcc_lo
// GFX1170: v_dual_min_num_f32 v255, ttmp15, v255 :: v_dual_mov_b32 v6, vcc_lo ; encoding: [0x7b,0xfe,0xd1,0xca,0x6a,0x00,0x06,0xff]

v_dual_min_num_f32 v255, exec_hi, v255 :: v_dual_mov_b32 v6, vcc_hi
// GFX1170: v_dual_min_num_f32 v255, exec_hi, v255 :: v_dual_mov_b32 v6, vcc_hi ; encoding: [0x7f,0xfe,0xd1,0xca,0x6b,0x00,0x06,0xff]

v_dual_min_num_f32 v255, exec_lo, v255 :: v_dual_mov_b32 v6, ttmp15
// GFX1170: v_dual_min_num_f32 v255, exec_lo, v255 :: v_dual_mov_b32 v6, ttmp15 ; encoding: [0x7e,0xfe,0xd1,0xca,0x7b,0x00,0x06,0xff]

v_dual_min_num_f32 v255, m0, v255 :: v_dual_mov_b32 v6, m0
// GFX1170: v_dual_min_num_f32 v255, m0, v255 :: v_dual_mov_b32 v6, m0 ; encoding: [0x7d,0xfe,0xd1,0xca,0x7d,0x00,0x06,0xff]

v_dual_min_num_f32 v255, vcc_hi, v255 :: v_dual_mov_b32 v6, exec_lo
// GFX1170: v_dual_min_num_f32 v255, vcc_hi, v255 :: v_dual_mov_b32 v6, exec_lo ; encoding: [0x6b,0xfe,0xd1,0xca,0x7e,0x00,0x06,0xff]

v_dual_min_num_f32 v255, vcc_lo, v255 :: v_dual_mov_b32 v6, exec_hi
// GFX1170: v_dual_min_num_f32 v255, vcc_lo, v255 :: v_dual_mov_b32 v6, exec_hi ; encoding: [0x6a,0xfe,0xd1,0xca,0x7f,0x00,0x06,0xff]

v_dual_min_num_f32 v255, 0xaf123456, v255 :: v_dual_mov_b32 v6, null
// GFX1170: v_dual_min_num_f32 v255, 0xaf123456, v255 :: v_dual_mov_b32 v6, null ; encoding: [0xff,0xfe,0xd1,0xca,0x7c,0x00,0x06,0xff,0x56,0x34,0x12,0xaf]

v_dual_min_num_f32 v255, src_scc, v255 :: v_dual_mov_b32 v6, -1
// GFX1170: v_dual_min_num_f32 v255, src_scc, v255 :: v_dual_mov_b32 v6, -1 ; encoding: [0xfd,0xfe,0xd1,0xca,0xc1,0x00,0x06,0xff]

v_dual_min_num_f32 v255, 0.5, v3 :: v_dual_mov_b32 v6, 0.5
// GFX1170: v_dual_min_num_f32 v255, 0.5, v3 :: v_dual_mov_b32 v6, 0.5 ; encoding: [0xf0,0x06,0xd0,0xca,0xf0,0x00,0x06,0xff]

v_dual_min_num_f32 v255, -1, v4 :: v_dual_mov_b32 v6, src_scc
// GFX1170: v_dual_min_num_f32 v255, -1, v4 :: v_dual_mov_b32 v6, src_scc ; encoding: [0xc1,0x08,0xd0,0xca,0xfd,0x00,0x06,0xff]

v_dual_min_num_f32 v6, null, v5 :: v_dual_mov_b32 v255, 0xaf123456
// GFX1170: v_dual_min_num_f32 v6, null, v5 :: v_dual_mov_b32 v255, 0xaf123456 ; encoding: [0x7c,0x0a,0xd0,0xca,0xff,0x00,0xfe,0x06,0x56,0x34,0x12,0xaf]

v_dual_mov_b32 v255, v4 :: v_dual_max_num_f32 v6, v1, v255
// GFX1170: v_dual_mov_b32 v255, v4 :: v_dual_max_num_f32 v6, v1, v255 ; encoding: [0x04,0x01,0x14,0xca,0x01,0xff,0x07,0xff]

v_dual_mov_b32 v255, v1 :: v_dual_max_num_f32 v6, v255, v255
// GFX1170: v_dual_mov_b32 v255, v1 :: v_dual_max_num_f32 v6, v255, v255 ; encoding: [0x01,0x01,0x14,0xca,0xff,0xff,0x07,0xff]
	;; [unrolled: 3-line block ×7, first 2 shown]

v_dual_mov_b32 v255, ttmp15 :: v_dual_max_num_f32 v6, vcc_lo, v255
// GFX1170: v_dual_mov_b32 v255, ttmp15 :: v_dual_max_num_f32 v6, vcc_lo, v255 ; encoding: [0x7b,0x00,0x14,0xca,0x6a,0xfe,0x07,0xff]

v_dual_mov_b32 v255, exec_hi :: v_dual_max_num_f32 v6, vcc_hi, v255
// GFX1170: v_dual_mov_b32 v255, exec_hi :: v_dual_max_num_f32 v6, vcc_hi, v255 ; encoding: [0x7f,0x00,0x14,0xca,0x6b,0xfe,0x07,0xff]

v_dual_mov_b32 v255, exec_lo :: v_dual_max_num_f32 v6, ttmp15, v255
// GFX1170: v_dual_mov_b32 v255, exec_lo :: v_dual_max_num_f32 v6, ttmp15, v255 ; encoding: [0x7e,0x00,0x14,0xca,0x7b,0xfe,0x07,0xff]

v_dual_mov_b32 v255, m0 :: v_dual_max_num_f32 v6, m0, v255
// GFX1170: v_dual_mov_b32 v255, m0 :: v_dual_max_num_f32 v6, m0, v255 ; encoding: [0x7d,0x00,0x14,0xca,0x7d,0xfe,0x07,0xff]

v_dual_mov_b32 v255, vcc_hi :: v_dual_max_num_f32 v6, exec_lo, v255
// GFX1170: v_dual_mov_b32 v255, vcc_hi :: v_dual_max_num_f32 v6, exec_lo, v255 ; encoding: [0x6b,0x00,0x14,0xca,0x7e,0xfe,0x07,0xff]

v_dual_mov_b32 v255, vcc_lo :: v_dual_max_num_f32 v6, exec_hi, v255
// GFX1170: v_dual_mov_b32 v255, vcc_lo :: v_dual_max_num_f32 v6, exec_hi, v255 ; encoding: [0x6a,0x00,0x14,0xca,0x7f,0xfe,0x07,0xff]

v_dual_mov_b32 v255, 0xaf123456 :: v_dual_max_num_f32 v6, null, v255
// GFX1170: v_dual_mov_b32 v255, 0xaf123456 :: v_dual_max_num_f32 v6, null, v255 ; encoding: [0xff,0x00,0x14,0xca,0x7c,0xfe,0x07,0xff,0x56,0x34,0x12,0xaf]

v_dual_mov_b32 v255, src_scc :: v_dual_max_num_f32 v6, -1, v255
// GFX1170: v_dual_mov_b32 v255, src_scc :: v_dual_max_num_f32 v6, -1, v255 ; encoding: [0xfd,0x00,0x14,0xca,0xc1,0xfe,0x07,0xff]

v_dual_mov_b32 v255, 0.5 :: v_dual_max_num_f32 v6, 0.5, v3
// GFX1170: v_dual_mov_b32 v255, 0.5 :: v_dual_max_num_f32 v6, 0.5, v3 ; encoding: [0xf0,0x00,0x14,0xca,0xf0,0x06,0x06,0xff]

v_dual_mov_b32 v255, -1 :: v_dual_max_num_f32 v6, src_scc, v4
// GFX1170: v_dual_mov_b32 v255, -1 :: v_dual_max_num_f32 v6, src_scc, v4 ; encoding: [0xc1,0x00,0x14,0xca,0xfd,0x08,0x06,0xff]

v_dual_mov_b32 v6, null :: v_dual_max_num_f32 v255, 0xaf123456, v5
// GFX1170: v_dual_mov_b32 v6, null :: v_dual_max_num_f32 v255, 0xaf123456, v5 ; encoding: [0x7c,0x00,0x14,0xca,0xff,0x0a,0xfe,0x06,0x56,0x34,0x12,0xaf]

v_dual_mov_b32 v255, v4 :: v_dual_min_num_f32 v6, v1, v255
// GFX1170: v_dual_mov_b32 v255, v4 :: v_dual_min_num_f32 v6, v1, v255 ; encoding: [0x04,0x01,0x16,0xca,0x01,0xff,0x07,0xff]

v_dual_mov_b32 v255, v1 :: v_dual_min_num_f32 v6, v255, v255
// GFX1170: v_dual_mov_b32 v255, v1 :: v_dual_min_num_f32 v6, v255, v255 ; encoding: [0x01,0x01,0x16,0xca,0xff,0xff,0x07,0xff]
	;; [unrolled: 3-line block ×7, first 2 shown]

v_dual_mov_b32 v255, ttmp15 :: v_dual_min_num_f32 v6, vcc_lo, v255
// GFX1170: v_dual_mov_b32 v255, ttmp15 :: v_dual_min_num_f32 v6, vcc_lo, v255 ; encoding: [0x7b,0x00,0x16,0xca,0x6a,0xfe,0x07,0xff]

v_dual_mov_b32 v255, exec_hi :: v_dual_min_num_f32 v6, vcc_hi, v255
// GFX1170: v_dual_mov_b32 v255, exec_hi :: v_dual_min_num_f32 v6, vcc_hi, v255 ; encoding: [0x7f,0x00,0x16,0xca,0x6b,0xfe,0x07,0xff]

v_dual_mov_b32 v255, exec_lo :: v_dual_min_num_f32 v6, ttmp15, v255
// GFX1170: v_dual_mov_b32 v255, exec_lo :: v_dual_min_num_f32 v6, ttmp15, v255 ; encoding: [0x7e,0x00,0x16,0xca,0x7b,0xfe,0x07,0xff]

v_dual_mov_b32 v255, m0 :: v_dual_min_num_f32 v6, m0, v255
// GFX1170: v_dual_mov_b32 v255, m0 :: v_dual_min_num_f32 v6, m0, v255 ; encoding: [0x7d,0x00,0x16,0xca,0x7d,0xfe,0x07,0xff]

v_dual_mov_b32 v255, vcc_hi :: v_dual_min_num_f32 v6, exec_lo, v255
// GFX1170: v_dual_mov_b32 v255, vcc_hi :: v_dual_min_num_f32 v6, exec_lo, v255 ; encoding: [0x6b,0x00,0x16,0xca,0x7e,0xfe,0x07,0xff]

v_dual_mov_b32 v255, vcc_lo :: v_dual_min_num_f32 v6, exec_hi, v255
// GFX1170: v_dual_mov_b32 v255, vcc_lo :: v_dual_min_num_f32 v6, exec_hi, v255 ; encoding: [0x6a,0x00,0x16,0xca,0x7f,0xfe,0x07,0xff]

v_dual_mov_b32 v255, 0xaf123456 :: v_dual_min_num_f32 v6, null, v255
// GFX1170: v_dual_mov_b32 v255, 0xaf123456 :: v_dual_min_num_f32 v6, null, v255 ; encoding: [0xff,0x00,0x16,0xca,0x7c,0xfe,0x07,0xff,0x56,0x34,0x12,0xaf]

v_dual_mov_b32 v255, src_scc :: v_dual_min_num_f32 v6, -1, v255
// GFX1170: v_dual_mov_b32 v255, src_scc :: v_dual_min_num_f32 v6, -1, v255 ; encoding: [0xfd,0x00,0x16,0xca,0xc1,0xfe,0x07,0xff]

v_dual_mov_b32 v255, 0.5 :: v_dual_min_num_f32 v6, 0.5, v3
// GFX1170: v_dual_mov_b32 v255, 0.5 :: v_dual_min_num_f32 v6, 0.5, v3 ; encoding: [0xf0,0x00,0x16,0xca,0xf0,0x06,0x06,0xff]

v_dual_mov_b32 v255, -1 :: v_dual_min_num_f32 v6, src_scc, v4
// GFX1170: v_dual_mov_b32 v255, -1 :: v_dual_min_num_f32 v6, src_scc, v4 ; encoding: [0xc1,0x00,0x16,0xca,0xfd,0x08,0x06,0xff]

v_dual_mov_b32 v6, null :: v_dual_min_num_f32 v255, 0xaf123456, v5
// GFX1170: v_dual_mov_b32 v6, null :: v_dual_min_num_f32 v255, 0xaf123456, v5 ; encoding: [0x7c,0x00,0x16,0xca,0xff,0x0a,0xfe,0x06,0x56,0x34,0x12,0xaf]
